;; amdgpu-corpus repo=ROCm/rocFFT kind=compiled arch=gfx950 opt=O3
	.text
	.amdgcn_target "amdgcn-amd-amdhsa--gfx950"
	.amdhsa_code_object_version 6
	.protected	fft_rtc_back_len84_factors_2_6_7_wgs_189_tpt_7_dim2_sp_ip_CI_sbcc_twdbase8_2step_dirReg ; -- Begin function fft_rtc_back_len84_factors_2_6_7_wgs_189_tpt_7_dim2_sp_ip_CI_sbcc_twdbase8_2step_dirReg
	.globl	fft_rtc_back_len84_factors_2_6_7_wgs_189_tpt_7_dim2_sp_ip_CI_sbcc_twdbase8_2step_dirReg
	.p2align	8
	.type	fft_rtc_back_len84_factors_2_6_7_wgs_189_tpt_7_dim2_sp_ip_CI_sbcc_twdbase8_2step_dirReg,@function
fft_rtc_back_len84_factors_2_6_7_wgs_189_tpt_7_dim2_sp_ip_CI_sbcc_twdbase8_2step_dirReg: ; @fft_rtc_back_len84_factors_2_6_7_wgs_189_tpt_7_dim2_sp_ip_CI_sbcc_twdbase8_2step_dirReg
; %bb.0:
	s_load_dwordx4 s[4:7], s[0:1], 0x10
	s_mov_b32 s3, 0
	s_mov_b64 s[16:17], -1
	s_waitcnt lgkmcnt(0)
	s_load_dwordx2 s[12:13], s[4:5], 0x8
	s_load_dwordx2 s[10:11], s[0:1], 0x50
	;; [unrolled: 1-line block ×3, first 2 shown]
	s_waitcnt lgkmcnt(0)
	s_add_u32 s4, s12, -1
	s_addc_u32 s5, s13, -1
	s_add_u32 s14, 0, 0xd0975000
	s_addc_u32 s15, 0, 30
	s_add_i32 s15, s15, 0x97b4240
	s_mul_hi_u32 s21, s14, 0xffffffe5
	s_sub_i32 s21, s21, s14
	s_mul_i32 s22, s15, 0xffffffe5
	s_mul_i32 s18, s14, 0xffffffe5
	s_add_i32 s21, s21, s22
	s_mul_hi_u32 s19, s15, s18
	s_mul_i32 s20, s15, s18
	s_mul_i32 s23, s14, s21
	s_mul_hi_u32 s18, s14, s18
	s_mul_hi_u32 s22, s14, s21
	s_add_u32 s18, s18, s23
	s_addc_u32 s22, 0, s22
	s_add_u32 s18, s18, s20
	s_mul_hi_u32 s23, s15, s21
	s_addc_u32 s18, s22, s19
	s_addc_u32 s19, s23, 0
	s_mul_i32 s20, s15, s21
	s_add_u32 s18, s18, s20
	v_mov_b32_e32 v1, s18
	s_addc_u32 s19, 0, s19
	v_add_co_u32_e32 v1, vcc, s14, v1
	s_cmp_lg_u64 vcc, 0
	s_addc_u32 s14, s15, s19
	v_readfirstlane_b32 s19, v1
	s_mul_i32 s18, s4, s14
	s_mul_hi_u32 s20, s4, s19
	s_mul_hi_u32 s15, s4, s14
	s_add_u32 s18, s20, s18
	s_addc_u32 s15, 0, s15
	s_mul_hi_u32 s21, s5, s19
	s_mul_i32 s19, s5, s19
	s_add_u32 s18, s18, s19
	s_mul_hi_u32 s20, s5, s14
	s_addc_u32 s15, s15, s21
	s_addc_u32 s18, s20, 0
	s_mul_i32 s14, s5, s14
	s_add_u32 s14, s15, s14
	s_addc_u32 s15, 0, s18
	s_add_u32 s18, s14, 1
	s_addc_u32 s19, s15, 0
	s_add_u32 s20, s14, 2
	s_mul_i32 s22, s15, 27
	s_mul_hi_u32 s23, s14, 27
	s_addc_u32 s21, s15, 0
	s_add_i32 s23, s23, s22
	s_mul_i32 s22, s14, 27
	v_mov_b32_e32 v1, s22
	v_sub_co_u32_e32 v1, vcc, s4, v1
	s_cmp_lg_u64 vcc, 0
	s_subb_u32 s4, s5, s23
	v_subrev_co_u32_e32 v2, vcc, 27, v1
	s_cmp_lg_u64 vcc, 0
	s_subb_u32 s5, s4, 0
	v_readfirstlane_b32 s22, v2
	s_cmp_gt_u32 s22, 26
	s_cselect_b32 s22, -1, 0
	s_cmp_eq_u32 s5, 0
	s_cselect_b32 s5, s22, -1
	s_cmp_lg_u32 s5, 0
	s_cselect_b32 s5, s20, s18
	s_cselect_b32 s18, s21, s19
	v_readfirstlane_b32 s19, v1
	s_cmp_gt_u32 s19, 26
	s_cselect_b32 s19, -1, 0
	s_cmp_eq_u32 s4, 0
	s_cselect_b32 s4, s19, -1
	s_cmp_lg_u32 s4, 0
	s_cselect_b32 s4, s5, s14
	s_cselect_b32 s15, s18, s15
	s_add_u32 s4, s4, 1
	s_addc_u32 s5, s15, 0
	v_mov_b64_e32 v[2:3], s[4:5]
	v_cmp_lt_u64_e32 vcc, s[2:3], v[2:3]
	s_mov_b64 s[18:19], 0
	s_cbranch_vccnz .LBB0_2
; %bb.1:
	v_cvt_f32_u32_e32 v1, s4
	s_sub_i32 s3, 0, s4
	v_rcp_iflag_f32_e32 v1, v1
	s_nop 0
	v_mul_f32_e32 v1, 0x4f7ffffe, v1
	v_cvt_u32_f32_e32 v1, v1
	s_nop 0
	v_readfirstlane_b32 s14, v1
	s_mul_i32 s3, s3, s14
	s_mul_hi_u32 s3, s14, s3
	s_add_i32 s14, s14, s3
	s_mul_hi_u32 s3, s2, s14
	s_mul_i32 s15, s3, s4
	s_sub_i32 s15, s2, s15
	s_add_i32 s14, s3, 1
	s_sub_i32 s18, s15, s4
	s_cmp_ge_u32 s15, s4
	s_cselect_b32 s3, s14, s3
	s_cselect_b32 s15, s18, s15
	s_add_i32 s14, s3, 1
	s_cmp_ge_u32 s15, s4
	s_cselect_b32 s18, s14, s3
.LBB0_2:
	s_mul_i32 s3, s18, s5
	s_mul_hi_u32 s5, s18, s4
	s_add_i32 s5, s5, s3
	s_mul_i32 s3, s18, s4
	s_sub_u32 s2, s2, s3
	s_subb_u32 s3, 0, s5
	s_load_dwordx4 s[4:7], s[6:7], 0x8
	s_mul_i32 s19, s3, 27
	s_mul_hi_u32 s3, s2, 27
	s_mul_i32 s21, s2, 27
	s_add_i32 s20, s3, s19
	s_waitcnt lgkmcnt(0)
	s_mul_i32 s22, s21, s5
	s_mul_hi_u32 s23, s21, s4
	s_mul_i32 s3, s20, s4
	s_add_i32 s22, s23, s22
	s_mul_i32 s7, s7, s18
	s_mul_hi_u32 s23, s6, s18
	v_mul_u32_u24_e32 v1, 0x97c, v0
	s_add_i32 s22, s22, s3
	s_mul_i32 s3, s21, s4
	s_add_i32 s23, s23, s7
	s_mul_i32 s6, s6, s18
	v_lshrrev_b32_e32 v80, 16, v1
	s_add_u32 s6, s6, s3
	v_mul_lo_u16_e32 v1, 27, v80
	s_load_dwordx2 s[14:15], s[0:1], 0x0
	s_addc_u32 s7, s23, s22
	v_sub_u16_e32 v18, v0, v1
	v_mov_b32_e32 v19, 0
	v_mad_u64_u32 v[20:21], s[2:3], s2, 27, v[18:19]
	s_add_u32 s18, s21, 27
	v_add_u32_e32 v21, s19, v21
	s_addc_u32 s19, s20, 0
	v_mov_b64_e32 v[2:3], s[12:13]
	v_cmp_gt_u64_e32 vcc, s[18:19], v[2:3]
	v_cmp_le_u64_e64 s[2:3], s[18:19], v[2:3]
	v_add_u32_e32 v1, 7, v80
	v_add_u32_e32 v30, 14, v80
	;; [unrolled: 1-line block ×3, first 2 shown]
	s_cbranch_vccnz .LBB0_4
; %bb.3:
	v_mad_u64_u32 v[2:3], s[16:17], s4, v18, 0
	v_mov_b32_e32 v4, v3
	v_mad_u64_u32 v[4:5], s[16:17], s5, v18, v[4:5]
	v_mov_b32_e32 v3, v4
	;; [unrolled: 2-line block ×3, first 2 shown]
	v_mad_u64_u32 v[6:7], s[16:17], s9, v80, v[6:7]
	s_lshl_b64 s[16:17], s[6:7], 3
	s_add_u32 s16, s10, s16
	s_addc_u32 s17, s11, s17
	v_mov_b32_e32 v5, v6
	v_lshl_add_u64 v[22:23], v[2:3], 3, s[16:17]
	v_lshl_add_u64 v[10:11], v[4:5], 3, v[22:23]
	v_add_u32_e32 v5, 42, v80
	v_mad_u64_u32 v[2:3], s[16:17], s8, v5, 0
	v_mov_b32_e32 v4, v3
	v_mad_u64_u32 v[4:5], s[16:17], s9, v5, v[4:5]
	v_mov_b32_e32 v3, v4
	v_add_u32_e32 v19, 7, v80
	v_lshl_add_u64 v[12:13], v[2:3], 3, v[22:23]
	v_mad_u64_u32 v[2:3], s[16:17], s8, v19, 0
	v_mov_b32_e32 v4, v3
	v_mad_u64_u32 v[4:5], s[16:17], s9, v19, v[4:5]
	v_mov_b32_e32 v3, v4
	v_add_u32_e32 v5, 49, v80
	v_lshl_add_u64 v[14:15], v[2:3], 3, v[22:23]
	;; [unrolled: 6-line block ×3, first 2 shown]
	global_load_dwordx2 v[6:7], v[10:11], off
	global_load_dwordx2 v[8:9], v[12:13], off
	;; [unrolled: 1-line block ×4, first 2 shown]
	v_mad_u64_u32 v[10:11], s[16:17], s8, v32, 0
	v_mov_b32_e32 v12, v11
	v_mad_u64_u32 v[12:13], s[16:17], s9, v32, v[12:13]
	v_mov_b32_e32 v11, v12
	v_add_u32_e32 v13, 56, v80
	v_lshl_add_u64 v[24:25], v[10:11], 3, v[22:23]
	v_mad_u64_u32 v[10:11], s[16:17], s8, v13, 0
	v_mov_b32_e32 v12, v11
	v_mad_u64_u32 v[12:13], s[16:17], s9, v13, v[12:13]
	v_mov_b32_e32 v11, v12
	v_add_u32_e32 v13, 21, v80
	v_lshl_add_u64 v[26:27], v[10:11], 3, v[22:23]
	;; [unrolled: 6-line block ×4, first 2 shown]
	global_load_dwordx2 v[10:11], v[24:25], off
	global_load_dwordx2 v[12:13], v[26:27], off
	;; [unrolled: 1-line block ×4, first 2 shown]
	v_mad_u64_u32 v[24:25], s[16:17], s8, v33, 0
	v_mov_b32_e32 v26, v25
	v_mad_u64_u32 v[26:27], s[16:17], s9, v33, v[26:27]
	v_mov_b32_e32 v25, v26
	v_add_u32_e32 v27, 0x46, v80
	v_lshl_add_u64 v[34:35], v[24:25], 3, v[22:23]
	v_mad_u64_u32 v[24:25], s[16:17], s8, v27, 0
	v_mov_b32_e32 v26, v25
	v_mad_u64_u32 v[26:27], s[16:17], s9, v27, v[26:27]
	v_mov_b32_e32 v25, v26
	v_add_u32_e32 v27, 35, v80
	v_lshl_add_u64 v[36:37], v[24:25], 3, v[22:23]
	;; [unrolled: 6-line block ×3, first 2 shown]
	v_mad_u64_u32 v[24:25], s[16:17], s8, v27, 0
	v_mov_b32_e32 v26, v25
	v_mad_u64_u32 v[26:27], s[16:17], s9, v27, v[26:27]
	v_mov_b32_e32 v25, v26
	v_lshl_add_u64 v[40:41], v[24:25], 3, v[22:23]
	global_load_dwordx2 v[22:23], v[34:35], off
	global_load_dwordx2 v[26:27], v[36:37], off
	;; [unrolled: 1-line block ×4, first 2 shown]
	s_cbranch_execz .LBB0_5
	s_branch .LBB0_10
.LBB0_4:
                                        ; implicit-def: $vgpr5
                                        ; implicit-def: $vgpr3
                                        ; implicit-def: $vgpr13
                                        ; implicit-def: $vgpr11
                                        ; implicit-def: $vgpr27
                                        ; implicit-def: $vgpr23
                                        ; implicit-def: $vgpr29
                                        ; implicit-def: $vgpr25
                                        ; implicit-def: $vgpr17
                                        ; implicit-def: $vgpr15
                                        ; implicit-def: $vgpr9
                                        ; implicit-def: $vgpr7
                                        ; implicit-def: $vgpr19
                                        ; implicit-def: $vgpr32
                                        ; implicit-def: $vgpr33
	s_andn2_b64 vcc, exec, s[16:17]
	s_cbranch_vccnz .LBB0_10
.LBB0_5:
	v_cmp_le_u64_e32 vcc, s[12:13], v[20:21]
                                        ; implicit-def: $vgpr19
                                        ; implicit-def: $vgpr32
                                        ; implicit-def: $vgpr33
	s_and_saveexec_b64 s[16:17], vcc
	s_xor_b64 s[16:17], exec, s[16:17]
; %bb.6:
	v_add_u32_e32 v19, 7, v80
	v_add_u32_e32 v32, 14, v80
	;; [unrolled: 1-line block ×3, first 2 shown]
                                        ; implicit-def: $vgpr1
                                        ; implicit-def: $vgpr30
                                        ; implicit-def: $vgpr31
; %bb.7:
	s_or_saveexec_b64 s[16:17], s[16:17]
                                        ; implicit-def: $vgpr5
                                        ; implicit-def: $vgpr3
                                        ; implicit-def: $vgpr13
                                        ; implicit-def: $vgpr11
                                        ; implicit-def: $vgpr27
                                        ; implicit-def: $vgpr23
                                        ; implicit-def: $vgpr29
                                        ; implicit-def: $vgpr25
                                        ; implicit-def: $vgpr17
                                        ; implicit-def: $vgpr15
                                        ; implicit-def: $vgpr9
                                        ; implicit-def: $vgpr7
	s_xor_b64 exec, exec, s[16:17]
	s_cbranch_execz .LBB0_9
; %bb.8:
	s_waitcnt vmcnt(9)
	v_mad_u64_u32 v[2:3], s[18:19], s4, v18, 0
	s_waitcnt vmcnt(8)
	v_mov_b32_e32 v4, v3
	v_mad_u64_u32 v[4:5], s[18:19], s5, v18, v[4:5]
	v_mov_b32_e32 v3, v4
	v_mad_u64_u32 v[4:5], s[18:19], s8, v80, 0
	;; [unrolled: 2-line block ×3, first 2 shown]
	s_lshl_b64 s[18:19], s[6:7], 3
	s_add_u32 s18, s10, s18
	s_addc_u32 s19, s11, s19
	v_mov_b32_e32 v5, v6
	s_waitcnt vmcnt(3)
	v_lshl_add_u64 v[22:23], v[2:3], 3, s[18:19]
	v_lshl_add_u64 v[10:11], v[4:5], 3, v[22:23]
	v_add_u32_e32 v5, 42, v80
	v_mad_u64_u32 v[2:3], s[18:19], s8, v5, 0
	v_mov_b32_e32 v4, v3
	v_mad_u64_u32 v[4:5], s[18:19], s9, v5, v[4:5]
	v_mov_b32_e32 v3, v4
	v_lshl_add_u64 v[12:13], v[2:3], 3, v[22:23]
	v_mad_u64_u32 v[2:3], s[18:19], s8, v1, 0
	v_mov_b32_e32 v4, v3
	v_mad_u64_u32 v[4:5], s[18:19], s9, v1, v[4:5]
	v_mov_b32_e32 v3, v4
	v_add_u32_e32 v5, 49, v80
	v_lshl_add_u64 v[14:15], v[2:3], 3, v[22:23]
	v_mad_u64_u32 v[2:3], s[18:19], s8, v5, 0
	v_mov_b32_e32 v4, v3
	v_mad_u64_u32 v[4:5], s[18:19], s9, v5, v[4:5]
	v_mov_b32_e32 v3, v4
	v_lshl_add_u64 v[16:17], v[2:3], 3, v[22:23]
	global_load_dwordx2 v[6:7], v[10:11], off
	global_load_dwordx2 v[8:9], v[12:13], off
	;; [unrolled: 1-line block ×4, first 2 shown]
	v_mad_u64_u32 v[10:11], s[18:19], s8, v30, 0
	v_mov_b32_e32 v12, v11
	v_mad_u64_u32 v[12:13], s[18:19], s9, v30, v[12:13]
	v_mov_b32_e32 v11, v12
	v_add_u32_e32 v13, 56, v80
	s_waitcnt vmcnt(5)
	v_lshl_add_u64 v[24:25], v[10:11], 3, v[22:23]
	v_mad_u64_u32 v[10:11], s[18:19], s8, v13, 0
	v_mov_b32_e32 v12, v11
	v_mad_u64_u32 v[12:13], s[18:19], s9, v13, v[12:13]
	v_mov_b32_e32 v11, v12
	v_add_u32_e32 v13, 21, v80
	v_lshl_add_u64 v[26:27], v[10:11], 3, v[22:23]
	v_mad_u64_u32 v[10:11], s[18:19], s8, v13, 0
	v_mov_b32_e32 v12, v11
	v_mad_u64_u32 v[12:13], s[18:19], s9, v13, v[12:13]
	v_mov_b32_e32 v11, v12
	v_add_u32_e32 v13, 63, v80
	s_waitcnt vmcnt(4)
	v_lshl_add_u64 v[28:29], v[10:11], 3, v[22:23]
	v_mad_u64_u32 v[10:11], s[18:19], s8, v13, 0
	v_mov_b32_e32 v12, v11
	v_mad_u64_u32 v[12:13], s[18:19], s9, v13, v[12:13]
	v_mov_b32_e32 v11, v12
	v_lshl_add_u64 v[32:33], v[10:11], 3, v[22:23]
	global_load_dwordx2 v[10:11], v[24:25], off
	global_load_dwordx2 v[12:13], v[26:27], off
	;; [unrolled: 1-line block ×4, first 2 shown]
	v_mad_u64_u32 v[24:25], s[18:19], s8, v31, 0
	v_mov_b32_e32 v26, v25
	v_mad_u64_u32 v[26:27], s[18:19], s9, v31, v[26:27]
	v_mov_b32_e32 v25, v26
	v_add_u32_e32 v19, 0x46, v80
	v_lshl_add_u64 v[32:33], v[24:25], 3, v[22:23]
	v_mad_u64_u32 v[24:25], s[18:19], s8, v19, 0
	v_mov_b32_e32 v26, v25
	v_mad_u64_u32 v[26:27], s[18:19], s9, v19, v[26:27]
	v_mov_b32_e32 v25, v26
	v_add_u32_e32 v19, 35, v80
	v_lshl_add_u64 v[34:35], v[24:25], 3, v[22:23]
	;; [unrolled: 6-line block ×3, first 2 shown]
	v_mad_u64_u32 v[24:25], s[18:19], s8, v19, 0
	v_mov_b32_e32 v26, v25
	v_mad_u64_u32 v[26:27], s[18:19], s9, v19, v[26:27]
	v_mov_b32_e32 v25, v26
	v_lshl_add_u64 v[38:39], v[24:25], 3, v[22:23]
	global_load_dwordx2 v[22:23], v[32:33], off
	global_load_dwordx2 v[26:27], v[34:35], off
	;; [unrolled: 1-line block ×4, first 2 shown]
	v_mov_b32_e32 v19, v1
	v_mov_b32_e32 v32, v30
	;; [unrolled: 1-line block ×3, first 2 shown]
.LBB0_9:
	s_or_b64 exec, exec, s[16:17]
.LBB0_10:
	s_waitcnt vmcnt(10)
	v_pk_add_f32 v[8:9], v[6:7], v[8:9] neg_lo:[0,1] neg_hi:[0,1]
	v_mul_u32_u24_e32 v1, 0x1b0, v80
	v_lshlrev_b32_e32 v41, 3, v18
	v_add3_u32 v1, 0, v1, v41
	v_pk_fma_f32 v[6:7], v[6:7], 2.0, v[8:9] op_sel_hi:[1,0,1] neg_lo:[0,0,1] neg_hi:[0,0,1]
	s_waitcnt vmcnt(8)
	v_pk_add_f32 v[4:5], v[2:3], v[4:5] neg_lo:[0,1] neg_hi:[0,1]
	ds_write2_b64 v1, v[6:7], v[8:9] offset1:27
	v_mul_i32_i24_e32 v6, 0x1b0, v19
	v_add3_u32 v30, 0, v6, v41
	v_pk_fma_f32 v[2:3], v[2:3], 2.0, v[4:5] op_sel_hi:[1,0,1] neg_lo:[0,0,1] neg_hi:[0,0,1]
	s_waitcnt vmcnt(6)
	v_pk_add_f32 v[12:13], v[10:11], v[12:13] neg_lo:[0,1] neg_hi:[0,1]
	ds_write2_b64 v30, v[2:3], v[4:5] offset1:27
	v_mul_i32_i24_e32 v2, 0x1b0, v32
	s_waitcnt vmcnt(4)
	v_pk_add_f32 v[16:17], v[14:15], v[16:17] neg_lo:[0,1] neg_hi:[0,1]
	v_add3_u32 v31, 0, v2, v41
	v_pk_fma_f32 v[2:3], v[10:11], 2.0, v[12:13] op_sel_hi:[1,0,1] neg_lo:[0,0,1] neg_hi:[0,0,1]
	ds_write2_b64 v31, v[2:3], v[12:13] offset1:27
	v_pk_fma_f32 v[2:3], v[14:15], 2.0, v[16:17] op_sel_hi:[1,0,1] neg_lo:[0,0,1] neg_hi:[0,0,1]
	v_add_u32_e32 v4, 0x2000, v1
	s_waitcnt vmcnt(2)
	v_pk_add_f32 v[26:27], v[22:23], v[26:27] neg_lo:[0,1] neg_hi:[0,1]
	ds_write2_b64 v4, v[2:3], v[16:17] offset0:110 offset1:137
	v_mul_i32_i24_e32 v2, 0x1b0, v33
	s_waitcnt vmcnt(0)
	v_pk_add_f32 v[28:29], v[24:25], v[28:29] neg_lo:[0,1] neg_hi:[0,1]
	v_add3_u32 v34, 0, v2, v41
	v_pk_fma_f32 v[2:3], v[22:23], 2.0, v[26:27] op_sel_hi:[1,0,1] neg_lo:[0,0,1] neg_hi:[0,0,1]
	ds_write2_b64 v34, v[2:3], v[26:27] offset1:27
	v_pk_fma_f32 v[2:3], v[24:25], 2.0, v[28:29] op_sel_hi:[1,0,1] neg_lo:[0,0,1] neg_hi:[0,0,1]
	v_add_u32_e32 v4, 0x3800, v1
	v_and_b32_e32 v57, 1, v80
	ds_write2_b64 v4, v[2:3], v[28:29] offset0:98 offset1:125
	v_mul_u32_u24_e32 v2, 5, v57
	v_lshlrev_b32_e32 v35, 3, v2
	s_waitcnt lgkmcnt(0)
	s_barrier
	global_load_dwordx4 v[6:9], v35, s[14:15] offset:16
	v_and_b32_e32 v63, 1, v19
	v_mul_u32_u24_e32 v2, 5, v63
	v_lshlrev_b32_e32 v22, 3, v2
	global_load_dwordx4 v[14:17], v22, s[14:15]
	global_load_dwordx4 v[10:13], v22, s[14:15] offset:16
	global_load_dwordx2 v[24:25], v22, s[14:15] offset:32
	global_load_dwordx4 v[2:5], v35, s[14:15]
	s_movk_i32 s16, 0xff28
	v_mad_i32_i24 v1, v80, s16, v1
	v_mad_i32_i24 v40, v19, s16, v30
	v_add_u32_e32 v26, 0x1c00, v1
	v_add_u32_e32 v30, 0x2800, v1
	v_mad_i32_i24 v36, v32, s16, v31
	v_mad_i32_i24 v34, v33, s16, v34
	ds_read_b64 v[22:23], v40
	ds_read_b64 v[38:39], v1 offset:16632
	ds_read_b64 v[42:43], v1 offset:4536
	ds_read_b64 v[44:45], v1
	ds_read2_b64 v[26:29], v26 offset0:49 offset1:238
	ds_read2_b64 v[30:33], v30 offset0:43 offset1:232
	ds_read_b64 v[46:47], v36
	ds_read_b64 v[48:49], v34
	global_load_dwordx2 v[50:51], v35, s[14:15] offset:32
	v_add_u32_e32 v37, 0x3400, v1
	ds_read2_b64 v[34:37], v37 offset0:37 offset1:226
	s_mov_b32 s16, 0.5
	s_mov_b32 s17, 0x3f5db3d7
	s_mov_b32 s18, s17
	;; [unrolled: 1-line block ×4, first 2 shown]
	s_waitcnt lgkmcnt(0)
	s_barrier
	s_mov_b32 s22, -0.5
	s_mov_b32 s23, s17
	s_waitcnt vmcnt(5)
	v_pk_mul_f32 v[52:53], v[6:7], v[28:29] op_sel:[0,1]
	v_pk_mul_f32 v[54:55], v[8:9], v[32:33] op_sel:[0,1]
	s_waitcnt vmcnt(4)
	v_mov_b32_e32 v56, v17
	v_pk_mul_f32 v[58:59], v[26:27], v[16:17] op_sel:[1,0] op_sel_hi:[0,1]
	v_pk_fma_f32 v[68:69], v[6:7], v[28:29], v[52:53] op_sel:[0,0,1] op_sel_hi:[1,1,0]
	v_pk_fma_f32 v[6:7], v[6:7], v[28:29], v[52:53] op_sel:[0,0,1] op_sel_hi:[1,0,0] neg_lo:[1,0,0] neg_hi:[1,0,0]
	s_waitcnt vmcnt(3)
	v_mov_b32_e32 v62, v13
	v_pk_mul_f32 v[64:65], v[34:35], v[12:13] op_sel:[1,0] op_sel_hi:[0,1]
	v_pk_fma_f32 v[28:29], v[8:9], v[32:33], v[54:55] op_sel:[0,0,1] op_sel_hi:[1,1,0]
	v_pk_fma_f32 v[8:9], v[8:9], v[32:33], v[54:55] op_sel:[0,0,1] op_sel_hi:[1,0,0] neg_lo:[1,0,0] neg_hi:[1,0,0]
	v_pk_mul_f32 v[32:33], v[26:27], v[56:57] op_sel:[1,0] op_sel_hi:[0,1]
	v_mov_b32_e32 v6, v59
	v_pk_mul_f32 v[54:55], v[34:35], v[62:63] op_sel:[1,0] op_sel_hi:[0,1]
	v_mov_b32_e32 v8, v65
	v_pk_fma_f32 v[32:33], v[26:27], v[16:17], v[32:33]
	v_pk_fma_f32 v[16:17], v[26:27], v[16:17], v[6:7] op_sel:[1,0,0] op_sel_hi:[0,1,1] neg_lo:[0,0,1] neg_hi:[0,0,1]
	s_waitcnt vmcnt(2)
	v_mov_b32_e32 v6, v25
	v_pk_fma_f32 v[26:27], v[34:35], v[12:13], v[54:55]
	v_pk_fma_f32 v[12:13], v[34:35], v[12:13], v[8:9] op_sel:[1,0,0] op_sel_hi:[0,1,1] neg_lo:[0,0,1] neg_hi:[0,0,1]
	v_pk_mul_f32 v[34:35], v[38:39], v[6:7] op_sel:[1,0] op_sel_hi:[0,1]
	v_pk_mul_f32 v[60:61], v[30:31], v[10:11] op_sel:[1,0] op_sel_hi:[0,1]
	v_pk_fma_f32 v[34:35], v[38:39], v[24:25], v[34:35]
	v_pk_mul_f32 v[24:25], v[38:39], v[24:25] op_sel:[1,0] op_sel_hi:[0,1]
	v_mov_b32_e32 v58, v11
	v_mov_b32_e32 v38, v60
	;; [unrolled: 1-line block ×5, first 2 shown]
	v_pk_mul_f32 v[52:53], v[30:31], v[58:59] op_sel:[1,0] op_sel_hi:[0,1]
	v_pk_add_f32 v[24:25], v[38:39], v[24:25] neg_lo:[0,1] neg_hi:[0,1]
	s_waitcnt vmcnt(1)
	v_pk_mul_f32 v[38:39], v[2:3], v[46:47] op_sel:[0,1]
	v_pk_mul_f32 v[66:67], v[42:43], v[14:15]
	v_pk_mul_f32 v[14:15], v[42:43], v[14:15] op_sel:[1,0] op_sel_hi:[0,1]
	v_pk_fma_f32 v[10:11], v[30:31], v[10:11], v[52:53]
	v_pk_mul_f32 v[30:31], v[42:43], v[64:65] op_sel:[1,0] op_sel_hi:[0,1]
	v_pk_fma_f32 v[42:43], v[2:3], v[46:47], v[38:39] op_sel:[0,0,1] op_sel_hi:[1,0,0]
	v_pk_fma_f32 v[2:3], v[2:3], v[46:47], v[38:39] op_sel:[0,0,1] op_sel_hi:[1,0,0] neg_lo:[1,0,0] neg_hi:[1,0,0]
	v_pk_mul_f32 v[38:39], v[4:5], v[48:49] op_sel:[0,1]
	v_add_f32_e32 v2, v24, v25
	v_pk_fma_f32 v[46:47], v[4:5], v[48:49], v[38:39] op_sel:[0,0,1] op_sel_hi:[1,1,0]
	v_pk_fma_f32 v[4:5], v[4:5], v[48:49], v[38:39] op_sel:[0,0,1] op_sel_hi:[1,0,0] neg_lo:[1,0,0] neg_hi:[1,0,0]
	v_mov_b32_e32 v48, v14
	v_mov_b32_e32 v49, v10
	;; [unrolled: 1-line block ×6, first 2 shown]
	v_mul_f32_e32 v38, 0.5, v2
	v_pk_add_f32 v[48:49], v[48:49], v[14:15] neg_lo:[0,1] neg_hi:[0,1]
	v_mov_b32_e32 v39, 0x3f5db3d7
	v_pk_add_f32 v[30:31], v[66:67], v[30:31]
	v_pk_add_f32 v[14:15], v[48:49], v[38:39] neg_lo:[0,1] neg_hi:[0,1]
	v_pk_mul_f32 v[38:39], v[48:49], s[16:17]
	v_fma_f32 v6, -0.5, v31, v30
	v_sub_f32_e32 v4, v24, v25
	v_mov_b32_e32 v2, v39
	v_sub_f32_e32 v8, v14, v39
	v_pk_add_f32 v[14:15], v[2:3], v[14:15]
	v_fmamk_f32 v2, v4, 0xbf5db3d7, v6
	v_fmac_f32_e32 v6, 0x3f5db3d7, v4
	v_lshrrev_b32_e32 v4, 1, v80
	v_mul_u32_u24_e32 v4, 12, v4
	v_mov_b32_e32 v33, v16
	v_mov_b32_e32 v27, v12
	v_or_b32_e32 v4, v4, v57
	v_mov_b32_e32 v17, v32
	v_mov_b32_e32 v13, v26
	v_pk_mul_f32 v[14:15], v[14:15], s[18:19] op_sel_hi:[0,1]
	v_pk_add_f32 v[38:39], v[32:33], v[26:27]
	v_mul_u32_u24_e32 v4, 0xd8, v4
	v_pk_add_f32 v[12:13], v[16:17], v[12:13] neg_lo:[0,1] neg_hi:[0,1]
	v_pk_fma_f32 v[16:17], v[2:3], s[16:17], v[14:15] neg_lo:[0,0,1] neg_hi:[0,0,1]
	v_pk_fma_f32 v[14:15], v[2:3], s[16:17], v[14:15] op_sel_hi:[0,1,1]
	v_pk_fma_f32 v[38:39], v[38:39], 0.5, v[22:23] op_sel_hi:[1,0,1] neg_lo:[1,0,0] neg_hi:[1,0,0]
	v_mul_f32_e32 v2, 0xbf5db3d7, v8
	v_mov_b32_e32 v47, v5
	v_add3_u32 v11, 0, v4, v41
	s_waitcnt vmcnt(0)
	v_pk_mul_f32 v[4:5], v[36:37], v[50:51] op_sel:[0,1]
	v_mov_b32_e32 v17, v15
	v_pk_mul_f32 v[14:15], v[12:13], s[20:21] op_sel_hi:[1,0]
	v_pk_fma_f32 v[52:53], v[12:13], s[20:21], v[38:39] op_sel_hi:[1,0,1]
	v_pk_fma_f32 v[12:13], v[12:13], s[20:21], v[38:39] op_sel_hi:[1,0,1] neg_lo:[1,0,0] neg_hi:[1,0,0]
	v_mov_b32_e32 v38, v39
	v_mul_f32_e32 v39, 0x3f5db3d7, v6
	v_fmac_f32_e32 v2, -0.5, v6
	v_mov_b32_e32 v69, v7
	v_pk_fma_f32 v[6:7], v[36:37], v[50:51], v[4:5] op_sel:[0,0,1] op_sel_hi:[1,1,0]
	v_pk_fma_f32 v[4:5], v[36:37], v[50:51], v[4:5] op_sel:[0,0,1] op_sel_hi:[1,0,0] neg_lo:[0,0,1] neg_hi:[0,0,1]
	v_mov_b32_e32 v14, v15
	v_mov_b32_e32 v7, v5
	v_mul_f32_e32 v15, 0.5, v8
	v_mov_b32_e32 v43, v3
	v_mov_b32_e32 v29, v9
	v_pk_add_f32 v[8:9], v[68:69], v[6:7]
	v_pk_add_f32 v[4:5], v[44:45], v[46:47]
	v_mov_b32_e32 v36, v42
	v_pk_add_f32 v[50:51], v[68:69], v[6:7] neg_lo:[0,1] neg_hi:[0,1]
	v_pk_add_f32 v[42:43], v[42:43], v[68:69]
	v_fmac_f32_e32 v3, -0.5, v9
	s_movk_i32 s21, 0xd8
	v_pk_add_f32 v[4:5], v[4:5], v[28:29]
	v_fmac_f32_e32 v36, -0.5, v8
	v_pk_add_f32 v[6:7], v[42:43], v[6:7]
	v_fmamk_f32 v42, v50, 0x3f5db3d7, v3
	v_pk_add_f32 v[54:55], v[46:47], v[28:29]
	v_pk_add_f32 v[28:29], v[46:47], v[28:29] neg_lo:[0,1] neg_hi:[0,1]
	v_fmamk_f32 v8, v51, 0xbf5db3d7, v36
	v_pk_fma_f32 v[44:45], v[54:55], 0.5, v[44:45] op_sel_hi:[1,0,1] neg_lo:[1,0,0] neg_hi:[1,0,0]
	v_pk_mul_f32 v[28:29], v[28:29], s[20:21] op_sel_hi:[1,0]
	v_pk_mul_f32 v[42:43], v[42:43], s[18:19] op_sel_hi:[0,1]
	v_pk_add_f32 v[46:47], v[44:45], v[28:29] op_sel:[0,1] op_sel_hi:[1,0] neg_lo:[0,1] neg_hi:[0,1]
	v_pk_add_f32 v[28:29], v[44:45], v[28:29] op_sel:[0,1] op_sel_hi:[1,0]
	v_pk_fma_f32 v[54:55], v[8:9], s[16:17], v[42:43] neg_lo:[0,0,1] neg_hi:[0,0,1]
	v_pk_fma_f32 v[8:9], v[8:9], s[16:17], v[42:43] op_sel_hi:[0,1,1]
	v_mov_b32_e32 v44, v46
	v_mov_b32_e32 v45, v29
	;; [unrolled: 1-line block ×3, first 2 shown]
	v_fmac_f32_e32 v36, 0x3f5db3d7, v51
	v_fmac_f32_e32 v3, 0xbf5db3d7, v50
	v_pk_add_f32 v[50:51], v[4:5], v[6:7]
	v_pk_add_f32 v[8:9], v[44:45], v[54:55]
	ds_write2_b64 v11, v[50:51], v[8:9] offset1:54
	v_mov_b32_e32 v8, v3
	v_pk_mul_f32 v[8:9], v[8:9], s[18:19] op_sel_hi:[0,1]
	v_pk_fma_f32 v[8:9], v[36:37], s[22:23], v[8:9] op_sel_hi:[0,1,1] neg_lo:[0,0,1] neg_hi:[0,0,1]
	v_mov_b32_e32 v29, v47
	v_pk_add_f32 v[36:37], v[28:29], v[8:9]
	v_pk_add_f32 v[4:5], v[4:5], v[6:7] neg_lo:[0,1] neg_hi:[0,1]
	ds_write2_b64 v11, v[36:37], v[4:5] offset0:108 offset1:162
	v_pk_add_f32 v[4:5], v[44:45], v[54:55] neg_lo:[0,1] neg_hi:[0,1]
	v_pk_add_f32 v[6:7], v[28:29], v[8:9] neg_lo:[0,1] neg_hi:[0,1]
	v_add_u32_e32 v3, 0x400, v11
	ds_write2_b64 v3, v[4:5], v[6:7] offset0:88 offset1:142
	v_lshrrev_b32_e32 v3, 1, v19
	v_mul_lo_u32 v3, v3, 12
	v_or_b32_e32 v3, v3, v63
	v_mov_b32_e32 v31, v48
	v_mov_b32_e32 v11, v24
	v_pk_add_f32 v[38:39], v[38:39], v[14:15] neg_lo:[0,1] neg_hi:[0,1]
	v_mul_lo_u32 v3, v3, s21
	v_pk_add_f32 v[4:5], v[30:31], v[10:11]
	v_mov_b32_e32 v35, v25
	v_pk_add_f32 v[6:7], v[22:23], v[32:33]
	v_mov_b32_e32 v13, v53
	v_add3_u32 v36, 0, v3, v41
	v_pk_add_f32 v[4:5], v[4:5], v[34:35]
	v_pk_add_f32 v[6:7], v[6:7], v[26:27]
	v_mov_b32_e32 v53, v38
	v_mov_b32_e32 v3, v39
	v_pk_add_f32 v[14:15], v[12:13], v[16:17]
	v_pk_add_f32 v[8:9], v[6:7], v[4:5]
	;; [unrolled: 1-line block ×3, first 2 shown]
	v_pk_add_f32 v[24:25], v[6:7], v[4:5] neg_lo:[0,1] neg_hi:[0,1]
	v_pk_add_f32 v[22:23], v[12:13], v[16:17] neg_lo:[0,1] neg_hi:[0,1]
	v_pk_add_f32 v[16:17], v[52:53], v[2:3] neg_lo:[0,1] neg_hi:[0,1]
	v_add_u32_e32 v2, 0x400, v36
	ds_write2_b64 v36, v[8:9], v[14:15] offset1:54
	ds_write2_b64 v36, v[28:29], v[24:25] offset0:108 offset1:162
	ds_write2_b64 v2, v[22:23], v[16:17] offset0:88 offset1:142
	s_waitcnt lgkmcnt(0)
	s_barrier
	ds_read_b64 v[6:7], v1
	ds_read_b64 v[38:39], v1 offset:2592
	ds_read_b64 v[36:37], v1 offset:5184
	;; [unrolled: 1-line block ×6, first 2 shown]
	s_movk_i32 s16, 0x86
	v_cmp_lt_u32_e32 vcc, s16, v0
                                        ; implicit-def: $vgpr32
                                        ; implicit-def: $vgpr26_vgpr27
	s_and_saveexec_b64 s[16:17], vcc
	s_xor_b64 s[16:17], exec, s[16:17]
; %bb.11:
	v_mov_b32_e32 v32, v16
	v_mov_b64_e32 v[26:27], v[16:17]
                                        ; implicit-def: $vgpr40
                                        ; implicit-def: $vgpr1
; %bb.12:
	s_or_saveexec_b64 s[16:17], s[16:17]
	s_movk_i32 s19, 0x87
                                        ; implicit-def: $vgpr30
	s_xor_b64 exec, exec, s[16:17]
	s_cbranch_execz .LBB0_14
; %bb.13:
	v_add_u32_e32 v2, 0x1800, v1
	ds_read_b64 v[30:31], v1 offset:14472
	ds_read_b64 v[32:33], v1 offset:17064
	ds_read_b64 v[14:15], v40
	ds_read_b64 v[28:29], v1 offset:4104
	ds_read_b64 v[22:23], v1 offset:9288
	;; [unrolled: 1-line block ×3, first 2 shown]
	ds_read2_b32 v[24:25], v2 offset0:138 offset1:139
	s_waitcnt lgkmcnt(5)
	v_mov_b32_e32 v26, v32
	s_waitcnt lgkmcnt(1)
	v_mov_b32_e32 v27, v17
.LBB0_14:
	s_or_b64 exec, exec, s[16:17]
	v_mul_lo_u16_e32 v1, 22, v80
	v_mov_b32_e32 v2, 12
	s_load_dwordx2 s[0:1], s[0:1], 0x8
	v_mul_lo_u16_sdwa v1, v1, v2 dst_sel:DWORD dst_unused:UNUSED_PAD src0_sel:BYTE_1 src1_sel:DWORD
	v_sub_u16_e32 v1, v80, v1
	v_and_b32_e32 v17, 0xff, v1
	v_mul_lo_u32 v2, v20, v17
	v_mov_b32_e32 v1, 3
	v_add_u32_e32 v81, 12, v17
	v_lshlrev_b32_sdwa v40, v1, v2 dst_sel:DWORD dst_unused:UNUSED_PAD src0_sel:DWORD src1_sel:BYTE_0
	v_lshlrev_b32_sdwa v41, v1, v2 dst_sel:DWORD dst_unused:UNUSED_PAD src0_sel:DWORD src1_sel:BYTE_1
	v_mul_lo_u32 v2, v20, v81
	v_add_u32_e32 v82, 24, v17
	v_lshlrev_b32_sdwa v42, v1, v2 dst_sel:DWORD dst_unused:UNUSED_PAD src0_sel:DWORD src1_sel:BYTE_0
	v_lshlrev_b32_sdwa v43, v1, v2 dst_sel:DWORD dst_unused:UNUSED_PAD src0_sel:DWORD src1_sel:BYTE_1
	s_waitcnt lgkmcnt(0)
	global_load_dwordx2 v[44:45], v40, s[0:1]
	global_load_dwordx2 v[46:47], v41, s[0:1] offset:2048
	global_load_dwordx2 v[2:3], v42, s[0:1]
	global_load_dwordx2 v[4:5], v43, s[0:1] offset:2048
	v_mul_lo_u32 v40, v20, v82
	v_lshlrev_b32_sdwa v41, v1, v40 dst_sel:DWORD dst_unused:UNUSED_PAD src0_sel:DWORD src1_sel:BYTE_0
	v_lshlrev_b32_sdwa v40, v1, v40 dst_sel:DWORD dst_unused:UNUSED_PAD src0_sel:DWORD src1_sel:BYTE_1
	global_load_dwordx2 v[48:49], v41, s[0:1]
	global_load_dwordx2 v[50:51], v40, s[0:1] offset:2048
	v_or_b32_e32 v40, 48, v17
	v_mul_lo_u32 v40, v20, v40
	v_add_u32_e32 v83, 36, v17
	v_lshlrev_b32_sdwa v41, v1, v40 dst_sel:DWORD dst_unused:UNUSED_PAD src0_sel:DWORD src1_sel:BYTE_0
	v_lshlrev_b32_sdwa v40, v1, v40 dst_sel:DWORD dst_unused:UNUSED_PAD src0_sel:DWORD src1_sel:BYTE_1
	global_load_dwordx2 v[54:55], v41, s[0:1]
	global_load_dwordx2 v[58:59], v40, s[0:1] offset:2048
	v_mul_lo_u32 v40, v20, v83
	v_lshlrev_b32_sdwa v41, v1, v40 dst_sel:DWORD dst_unused:UNUSED_PAD src0_sel:DWORD src1_sel:BYTE_0
	v_lshlrev_b32_sdwa v40, v1, v40 dst_sel:DWORD dst_unused:UNUSED_PAD src0_sel:DWORD src1_sel:BYTE_1
	v_add_u32_e32 v84, 60, v17
	global_load_dwordx2 v[52:53], v40, s[0:1] offset:2048
	global_load_dwordx2 v[56:57], v41, s[0:1]
	v_mul_lo_u32 v40, v20, v84
	v_lshlrev_b32_sdwa v41, v1, v40 dst_sel:DWORD dst_unused:UNUSED_PAD src0_sel:DWORD src1_sel:BYTE_0
	v_lshlrev_b32_sdwa v40, v1, v40 dst_sel:DWORD dst_unused:UNUSED_PAD src0_sel:DWORD src1_sel:BYTE_1
	v_add_u32_e32 v85, 0x48, v17
	global_load_dwordx2 v[60:61], v40, s[0:1] offset:2048
	global_load_dwordx2 v[62:63], v41, s[0:1]
	v_mul_lo_u32 v40, v20, v85
	s_movk_i32 s16, 0xab
	v_lshlrev_b32_sdwa v41, v1, v40 dst_sel:DWORD dst_unused:UNUSED_PAD src0_sel:DWORD src1_sel:BYTE_1
	v_lshlrev_b32_sdwa v64, v1, v40 dst_sel:DWORD dst_unused:UNUSED_PAD src0_sel:DWORD src1_sel:BYTE_0
	v_mul_lo_u16_sdwa v40, v19, s16 dst_sel:DWORD dst_unused:UNUSED_PAD src0_sel:BYTE_0 src1_sel:DWORD
	v_lshrrev_b16_e32 v40, 11, v40
	v_mul_lo_u16_e32 v40, 12, v40
	v_sub_u16_e32 v40, v19, v40
	v_and_b32_e32 v104, 0xff, v40
	v_mul_lo_u32 v40, v20, v104
	v_lshlrev_b32_sdwa v65, v1, v40 dst_sel:DWORD dst_unused:UNUSED_PAD src0_sel:DWORD src1_sel:BYTE_0
	global_load_dwordx2 v[68:69], v41, s[0:1] offset:2048
	v_lshlrev_b32_sdwa v66, v1, v40 dst_sel:DWORD dst_unused:UNUSED_PAD src0_sel:DWORD src1_sel:BYTE_1
	global_load_dwordx2 v[40:41], v65, s[0:1]
	global_load_dwordx2 v[42:43], v66, s[0:1] offset:2048
	global_load_dwordx2 v[94:95], v64, s[0:1]
	v_mul_u32_u24_e32 v64, 6, v17
	v_lshlrev_b32_e32 v64, 3, v64
	global_load_dwordx4 v[76:79], v64, s[14:15] offset:80
	global_load_dwordx4 v[86:89], v64, s[14:15] offset:96
	;; [unrolled: 1-line block ×3, first 2 shown]
	s_mov_b32 s16, 0xbf955555
	s_mov_b32 s22, 0xbeae86e6
	;; [unrolled: 1-line block ×6, first 2 shown]
	s_andn2_b64 vcc, exec, s[2:3]
	s_waitcnt vmcnt(17)
	v_mul_f32_e32 v64, v45, v47
	v_mul_f32_e32 v96, v44, v47
	v_fma_f32 v97, v44, v46, -v64
	v_fmac_f32_e32 v96, v45, v46
	s_waitcnt vmcnt(15)
	v_mul_f32_e32 v45, v3, v5
	v_mul_f32_e32 v105, v2, v5
	s_waitcnt vmcnt(13)
	v_mul_f32_e32 v5, v49, v51
	v_mul_f32_e32 v106, v48, v51
	v_fma_f32 v109, v48, v50, -v5
	v_fmac_f32_e32 v106, v49, v50
	v_fma_f32 v108, v2, v4, -v45
	v_fmac_f32_e32 v105, v3, v4
	s_waitcnt vmcnt(11)
	v_mul_f32_e32 v51, v55, v59
	v_mul_f32_e32 v107, v54, v59
	v_fma_f32 v110, v54, v58, -v51
	v_fmac_f32_e32 v107, v55, v58
	s_waitcnt vmcnt(10)
	v_mov_b32_e32 v44, v53
	s_waitcnt vmcnt(9)
	v_pk_mul_f32 v[46:47], v[56:57], v[52:53] op_sel:[1,0] op_sel_hi:[0,1]
	v_pk_mul_f32 v[2:3], v[56:57], v[44:45] op_sel:[1,0] op_sel_hi:[0,1]
	v_mov_b32_e32 v4, v47
	v_pk_fma_f32 v[72:73], v[56:57], v[52:53], v[2:3] neg_lo:[0,0,1] neg_hi:[0,0,1]
	s_waitcnt vmcnt(8)
	v_mov_b32_e32 v46, v61
	s_waitcnt vmcnt(7)
	v_pk_mul_f32 v[64:65], v[62:63], v[60:61] op_sel:[1,0] op_sel_hi:[0,1]
	v_pk_mul_f32 v[44:45], v[62:63], v[46:47] op_sel:[1,0] op_sel_hi:[0,1]
	v_mov_b32_e32 v46, v65
	v_pk_fma_f32 v[74:75], v[56:57], v[52:53], v[4:5] op_sel:[1,0,0] op_sel_hi:[0,1,1]
	v_mov_b32_e32 v54, v35
	v_mov_b32_e32 v55, v36
	;; [unrolled: 1-line block ×6, first 2 shown]
	v_pk_fma_f32 v[66:67], v[62:63], v[60:61], v[44:45] neg_lo:[0,0,1] neg_hi:[0,0,1]
	v_pk_fma_f32 v[70:71], v[62:63], v[60:61], v[46:47] op_sel:[1,0,0] op_sel_hi:[0,1,1]
	s_waitcnt vmcnt(6)
	v_mov_b32_e32 v64, v69
	s_waitcnt vmcnt(3)
	v_pk_mul_f32 v[48:49], v[94:95], v[64:65] op_sel:[1,0] op_sel_hi:[0,1]
	v_pk_fma_f32 v[64:65], v[94:95], v[68:69], v[48:49] neg_lo:[0,0,1] neg_hi:[0,0,1]
	v_mov_b32_e32 v48, v37
	v_mov_b32_e32 v49, v13
	s_waitcnt vmcnt(2)
	v_mov_b32_e32 v50, v79
	s_waitcnt vmcnt(0)
	v_mov_b32_e32 v51, v91
	v_pk_mul_f32 v[2:3], v[94:95], v[68:69] op_sel:[1,0] op_sel_hi:[0,1]
	v_pk_mul_f32 v[48:49], v[50:51], v[48:49]
	v_mov_b32_e32 v50, v36
	v_mov_b32_e32 v51, v12
	;; [unrolled: 1-line block ×6, first 2 shown]
	v_pk_fma_f32 v[48:49], v[78:79], v[50:51], v[48:49]
	v_mov_b32_e32 v51, v78
	v_pk_mul_f32 v[52:53], v[52:53], v[54:55]
	v_mov_b32_e32 v50, v86
	v_mov_b32_e32 v36, v34
	v_pk_fma_f32 v[68:69], v[94:95], v[68:69], v[2:3] op_sel:[1,0,0] op_sel_hi:[0,1,1]
	v_mov_b32_e32 v2, v39
	v_mov_b32_e32 v3, v34
	;; [unrolled: 1-line block ×4, first 2 shown]
	v_pk_fma_f32 v[36:37], v[50:51], v[36:37], v[52:53] neg_lo:[0,0,1] neg_hi:[0,0,1]
	v_mov_b32_e32 v51, v90
	v_mov_b32_e32 v90, v88
	v_pk_mul_f32 v[2:3], v[4:5], v[2:3]
	v_mov_b32_e32 v5, v35
	v_pk_fma_f32 v[34:35], v[86:87], v[34:35], v[52:53] op_sel_hi:[1,0,1]
	v_mov_b32_e32 v50, v89
	v_mov_b32_e32 v52, v11
	;; [unrolled: 1-line block ×5, first 2 shown]
	v_pk_mul_f32 v[56:57], v[90:91], v[56:57]
	v_mov_b32_e32 v4, v38
	v_mov_b32_e32 v44, v76
	;; [unrolled: 1-line block ×3, first 2 shown]
	v_pk_mul_f32 v[52:53], v[88:89], v[52:53]
	v_mov_b32_e32 v54, v92
	v_mul_f32_e32 v12, v93, v10
	v_pk_fma_f32 v[58:59], v[50:51], v[58:59], v[56:57] neg_lo:[0,0,1] neg_hi:[0,0,1]
	v_pk_fma_f32 v[50:51], v[50:51], v[8:9], v[56:57] op_sel:[0,1,0]
	v_mov_b32_e32 v8, v10
	v_pk_fma_f32 v[46:47], v[44:45], v[4:5], v[2:3]
	v_pk_fma_f32 v[44:45], v[44:45], v[4:5], v[2:3] neg_lo:[0,0,1] neg_hi:[0,0,1]
	v_mul_f32_e32 v38, v77, v38
	v_fma_f32 v12, v92, v11, -v12
	v_pk_fma_f32 v[10:11], v[54:55], v[8:9], v[52:53]
	v_pk_fma_f32 v[8:9], v[54:55], v[8:9], v[52:53] neg_lo:[0,0,1] neg_hi:[0,0,1]
	v_fma_f32 v38, v76, v39, -v38
	v_mov_b32_e32 v39, v46
	v_mov_b32_e32 v13, v10
	;; [unrolled: 1-line block ×7, first 2 shown]
	v_add_f32_e32 v53, v38, v12
	v_pk_add_f32 v[12:13], v[38:39], v[12:13] neg_lo:[0,1] neg_hi:[0,1]
	v_pk_add_f32 v[38:39], v[48:49], v[8:9]
	v_mov_b32_e32 v36, v37
	v_mov_b32_e32 v37, v48
	;; [unrolled: 1-line block ×3, first 2 shown]
	v_pk_add_f32 v[10:11], v[46:47], v[10:11]
	v_mov_b32_e32 v8, v9
	v_mov_b32_e32 v9, v50
	v_pk_add_f32 v[46:47], v[34:35], v[50:51]
	v_mov_b32_e32 v44, v45
	v_mov_b32_e32 v45, v34
	v_pk_add_f32 v[36:37], v[36:37], v[48:49] neg_lo:[0,1] neg_hi:[0,1]
	v_pk_add_f32 v[8:9], v[8:9], v[44:45] neg_lo:[0,1] neg_hi:[0,1]
	v_mov_b32_e32 v34, v46
	v_mov_b32_e32 v35, v53
	;; [unrolled: 1-line block ×4, first 2 shown]
	v_pk_add_f32 v[34:35], v[34:35], v[44:45] neg_lo:[0,1] neg_hi:[0,1]
	v_mov_b32_e32 v44, v8
	v_mov_b32_e32 v45, v13
	;; [unrolled: 1-line block ×4, first 2 shown]
	v_pk_add_f32 v[44:45], v[44:45], v[48:49] neg_lo:[0,1] neg_hi:[0,1]
	v_mov_b32_e32 v48, v12
	v_pk_add_f32 v[50:51], v[8:9], v[36:37]
	v_mov_b32_e32 v9, v37
	v_mov_b32_e32 v39, v47
	;; [unrolled: 1-line block ×3, first 2 shown]
	v_pk_add_f32 v[8:9], v[48:49], v[8:9] neg_lo:[0,1] neg_hi:[0,1]
	v_pk_add_f32 v[48:49], v[10:11], v[46:47] neg_lo:[0,1] neg_hi:[0,1]
	v_mov_b32_e32 v47, v11
	v_pk_add_f32 v[10:11], v[38:39], v[52:53]
	v_pk_mul_f32 v[90:91], v[44:45], s[24:25]
	v_pk_add_f32 v[10:11], v[46:47], v[10:11]
	v_pk_add_f32 v[88:89], v[50:51], v[12:13]
	;; [unrolled: 1-line block ×3, first 2 shown]
	v_pk_mul_f32 v[76:77], v[8:9], s[22:23]
	v_pk_fma_f32 v[86:87], v[10:11], s[16:17], v[6:7] op_sel_hi:[1,0,1]
	s_mov_b32 s16, 0x3d64c772
	v_mul_f32_e32 v46, v6, v96
	v_mul_f32_e32 v62, v7, v96
	s_mov_b32 s17, 0x3f4a47b2
	v_fma_f32 v63, v7, v97, -v46
	v_fmac_f32_e32 v62, v6, v97
	v_pk_mul_f32 v[6:7], v[34:35], s[16:17]
	s_mov_b32 s20, s17
	s_mov_b32 s21, s16
	;; [unrolled: 1-line block ×3, first 2 shown]
	v_pk_fma_f32 v[10:11], v[48:49], s[20:21], v[6:7]
	v_pk_fma_f32 v[34:35], v[8:9], s[22:23], v[90:91]
	v_pk_add_f32 v[10:11], v[10:11], v[86:87]
	v_pk_fma_f32 v[34:35], v[88:89], s[16:17], v[34:35] op_sel_hi:[1,0,1]
	v_pk_add_f32 v[96:97], v[36:37], v[12:13] neg_lo:[0,1] neg_hi:[0,1]
	v_pk_mul_f32 v[12:13], v[48:49], s[20:21]
	v_pk_add_f32 v[92:93], v[34:35], v[10:11]
	v_pk_add_f32 v[94:95], v[10:11], v[34:35] neg_lo:[0,1] neg_hi:[0,1]
	v_pk_add_f32 v[10:11], v[38:39], v[52:53] neg_lo:[0,1] neg_hi:[0,1]
	s_mov_b32 s20, 0x3f3bfb3b
	v_mov_b32_e32 v8, v12
	v_mov_b32_e32 v9, v7
	;; [unrolled: 1-line block ×4, first 2 shown]
	v_pk_fma_f32 v[8:9], v[10:11], s[20:21], v[8:9] op_sel_hi:[1,0,1] neg_lo:[1,0,1] neg_hi:[1,0,1]
	v_pk_fma_f32 v[34:35], v[96:97], s[18:19], v[34:35] op_sel_hi:[1,0,1] neg_lo:[1,0,1] neg_hi:[1,0,1]
	v_mov_b32_e32 v7, v13
	v_pk_add_f32 v[8:9], v[8:9], v[86:87]
	v_pk_fma_f32 v[34:35], v[88:89], s[16:17], v[34:35] op_sel_hi:[1,0,1]
	v_pk_fma_f32 v[102:103], v[10:11], s[20:21], v[6:7] op_sel_hi:[1,0,1] neg_lo:[0,0,1] neg_hi:[0,0,1]
	v_add_u32_e32 v6, 12, v104
	v_mul_u32_u24_e32 v2, 6, v104
	v_pk_add_f32 v[98:99], v[34:35], v[8:9]
	v_pk_add_f32 v[100:101], v[8:9], v[34:35] neg_lo:[0,1] neg_hi:[0,1]
	v_mul_lo_u32 v6, v20, v6
	v_add_u32_e32 v8, 24, v104
	v_lshlrev_b32_e32 v111, 3, v2
	v_lshlrev_b32_sdwa v7, v1, v6 dst_sel:DWORD dst_unused:UNUSED_PAD src0_sel:DWORD src1_sel:BYTE_0
	v_lshlrev_b32_sdwa v6, v1, v6 dst_sel:DWORD dst_unused:UNUSED_PAD src0_sel:DWORD src1_sel:BYTE_1
	v_mul_lo_u32 v8, v20, v8
	global_load_dwordx4 v[2:5], v111, s[14:15] offset:80
	v_lshlrev_b32_sdwa v9, v1, v8 dst_sel:DWORD dst_unused:UNUSED_PAD src0_sel:DWORD src1_sel:BYTE_0
	v_lshlrev_b32_sdwa v8, v1, v8 dst_sel:DWORD dst_unused:UNUSED_PAD src0_sel:DWORD src1_sel:BYTE_1
	global_load_dwordx2 v[38:39], v7, s[0:1]
	global_load_dwordx2 v[44:45], v6, s[0:1] offset:2048
	global_load_dwordx2 v[34:35], v9, s[0:1]
	global_load_dwordx2 v[36:37], v8, s[0:1] offset:2048
	v_add_u32_e32 v6, 36, v104
	v_mul_lo_u32 v6, v20, v6
	v_or_b32_e32 v8, 48, v104
	v_lshlrev_b32_sdwa v7, v1, v6 dst_sel:DWORD dst_unused:UNUSED_PAD src0_sel:DWORD src1_sel:BYTE_0
	v_lshlrev_b32_sdwa v6, v1, v6 dst_sel:DWORD dst_unused:UNUSED_PAD src0_sel:DWORD src1_sel:BYTE_1
	v_mul_lo_u32 v8, v20, v8
	v_lshlrev_b32_sdwa v9, v1, v8 dst_sel:DWORD dst_unused:UNUSED_PAD src0_sel:DWORD src1_sel:BYTE_0
	v_lshlrev_b32_sdwa v8, v1, v8 dst_sel:DWORD dst_unused:UNUSED_PAD src0_sel:DWORD src1_sel:BYTE_1
	global_load_dwordx2 v[50:51], v7, s[0:1]
	global_load_dwordx2 v[52:53], v6, s[0:1] offset:2048
	global_load_dwordx2 v[46:47], v9, s[0:1]
	global_load_dwordx2 v[48:49], v8, s[0:1] offset:2048
	v_add_u32_e32 v6, 60, v104
	v_mul_lo_u32 v6, v20, v6
	v_lshlrev_b32_sdwa v76, v1, v6 dst_sel:DWORD dst_unused:UNUSED_PAD src0_sel:DWORD src1_sel:BYTE_0
	v_lshlrev_b32_sdwa v78, v1, v6 dst_sel:DWORD dst_unused:UNUSED_PAD src0_sel:DWORD src1_sel:BYTE_1
	v_add_u32_e32 v6, 0x48, v104
	v_mul_lo_u32 v6, v20, v6
	v_lshlrev_b32_sdwa v79, v1, v6 dst_sel:DWORD dst_unused:UNUSED_PAD src0_sel:DWORD src1_sel:BYTE_0
	v_lshlrev_b32_sdwa v1, v1, v6 dst_sel:DWORD dst_unused:UNUSED_PAD src0_sel:DWORD src1_sel:BYTE_1
	global_load_dwordx2 v[58:59], v76, s[0:1]
	global_load_dwordx2 v[60:61], v78, s[0:1] offset:2048
	global_load_dwordx2 v[54:55], v79, s[0:1]
	global_load_dwordx2 v[56:57], v1, s[0:1] offset:2048
	global_load_dwordx4 v[10:13], v111, s[14:15] offset:112
	global_load_dwordx4 v[6:9], v111, s[14:15] offset:96
	v_mov_b32_e32 v91, v77
	v_pk_fma_f32 v[90:91], v[96:97], s[18:19], v[90:91] op_sel_hi:[1,0,1] neg_lo:[0,0,1] neg_hi:[0,0,1]
	v_pk_add_f32 v[86:87], v[102:103], v[86:87]
	v_pk_fma_f32 v[88:89], v[88:89], s[16:17], v[90:91] op_sel_hi:[1,0,1]
	v_mul_f32_e32 v1, v92, v105
	v_pk_add_f32 v[90:91], v[86:87], v[88:89] neg_lo:[0,1] neg_hi:[0,1]
	v_pk_add_f32 v[86:87], v[86:87], v[88:89]
	v_mov_b32_e32 v89, v90
	v_mov_b32_e32 v88, v87
	v_pk_mul_f32 v[74:75], v[88:89], v[74:75] op_sel_hi:[1,0]
	v_mov_b32_e32 v88, v90
	v_mov_b32_e32 v89, v87
	v_fma_f32 v79, v95, v108, -v1
	v_mul_f32_e32 v1, v98, v106
	v_pk_fma_f32 v[88:89], v[88:89], v[72:73], v[74:75] op_sel_hi:[1,0,1] neg_lo:[0,0,1] neg_hi:[0,0,1]
	v_pk_fma_f32 v[74:75], v[90:91], v[72:73], v[74:75]
	v_mul_f32_e32 v72, v91, v107
	v_fma_f32 v77, v101, v109, -v1
	v_fmac_f32_e32 v72, v86, v110
	v_mul_f32_e32 v1, v86, v107
	v_mov_b32_e32 v86, v99
	v_mov_b32_e32 v87, v100
	;; [unrolled: 1-line block ×4, first 2 shown]
	v_pk_mul_f32 v[86:87], v[86:87], v[70:71] op_sel_hi:[1,0]
	v_mov_b32_e32 v96, v94
	v_pk_fma_f32 v[70:71], v[100:101], v[66:67], v[86:87]
	v_pk_fma_f32 v[86:87], v[102:103], v[66:67], v[86:87] op_sel_hi:[1,0,1] neg_lo:[0,0,1] neg_hi:[0,0,1]
	v_mov_b32_e32 v66, v93
	v_mov_b32_e32 v67, v94
	;; [unrolled: 1-line block ×3, first 2 shown]
	v_pk_mul_f32 v[68:69], v[66:67], v[68:69] op_sel_hi:[1,0]
	v_mul_f32_e32 v78, v95, v105
	v_mul_f32_e32 v76, v101, v106
	v_pk_fma_f32 v[66:67], v[94:95], v[64:65], v[68:69]
	v_pk_fma_f32 v[64:65], v[96:97], v[64:65], v[68:69] op_sel_hi:[1,0,1] neg_lo:[0,0,1] neg_hi:[0,0,1]
	v_fmac_f32_e32 v78, v92, v108
	v_fmac_f32_e32 v76, v98, v109
	v_mov_b32_e32 v75, v89
	v_fma_f32 v73, v91, v110, -v1
	v_cmp_gt_u32_e64 s[0:1], s19, v0
	v_mov_b32_e32 v71, v87
	v_mov_b32_e32 v67, v65
	s_cbranch_vccnz .LBB0_16
; %bb.15:
	v_mad_u64_u32 v[0:1], s[2:3], s4, v18, 0
	v_mov_b32_e32 v64, v1
	v_mad_u64_u32 v[64:65], s[2:3], s5, v18, v[64:65]
	v_mov_b32_e32 v1, v64
	v_mad_u64_u32 v[64:65], s[2:3], s8, v17, 0
	v_mov_b32_e32 v68, v65
	v_mad_u64_u32 v[68:69], s[2:3], s9, v17, v[68:69]
	s_lshl_b64 s[2:3], s[6:7], 3
	s_add_u32 s2, s10, s2
	s_addc_u32 s3, s11, s3
	v_mov_b32_e32 v65, v68
	v_lshl_add_u64 v[0:1], v[0:1], 3, s[2:3]
	v_lshl_add_u64 v[64:65], v[64:65], 3, v[0:1]
	global_store_dwordx2 v[64:65], v[62:63], off
	v_mad_u64_u32 v[64:65], s[2:3], s8, v81, 0
	v_mov_b32_e32 v68, v65
	v_mad_u64_u32 v[68:69], s[2:3], s9, v81, v[68:69]
	v_mov_b32_e32 v65, v68
	v_lshl_add_u64 v[64:65], v[64:65], 3, v[0:1]
	global_store_dwordx2 v[64:65], v[78:79], off
	v_mad_u64_u32 v[64:65], s[2:3], s8, v82, 0
	v_mov_b32_e32 v68, v65
	v_mad_u64_u32 v[68:69], s[2:3], s9, v82, v[68:69]
	v_mov_b32_e32 v65, v68
	;; [unrolled: 6-line block ×3, first 2 shown]
	v_lshl_add_u64 v[64:65], v[64:65], 3, v[0:1]
	v_add_u32_e32 v69, 48, v17
	global_store_dwordx2 v[64:65], v[74:75], off
	v_mad_u64_u32 v[64:65], s[2:3], s8, v69, 0
	v_mov_b32_e32 v68, v65
	v_mad_u64_u32 v[68:69], s[2:3], s9, v69, v[68:69]
	v_mov_b32_e32 v65, v68
	v_lshl_add_u64 v[64:65], v[64:65], 3, v[0:1]
	global_store_dwordx2 v[64:65], v[72:73], off
	v_mad_u64_u32 v[64:65], s[2:3], s8, v84, 0
	v_mov_b32_e32 v68, v65
	v_mad_u64_u32 v[68:69], s[2:3], s9, v84, v[68:69]
	v_mov_b32_e32 v65, v68
	v_lshl_add_u64 v[64:65], v[64:65], 3, v[0:1]
	;; [unrolled: 6-line block ×3, first 2 shown]
	s_and_b64 s[2:3], s[0:1], exec
	global_store_dwordx2 v[64:65], v[66:67], off
	s_cbranch_execz .LBB0_17
	s_branch .LBB0_20
.LBB0_16:
	s_mov_b64 s[2:3], 0
                                        ; implicit-def: $vgpr0_vgpr1
.LBB0_17:
	v_cmp_gt_u64_e32 vcc, s[12:13], v[20:21]
                                        ; implicit-def: $vgpr0_vgpr1
	s_and_saveexec_b64 s[12:13], vcc
	s_cbranch_execz .LBB0_19
; %bb.18:
	v_mad_u64_u32 v[0:1], s[14:15], s4, v18, 0
	v_mov_b32_e32 v20, v1
	v_mad_u64_u32 v[20:21], s[4:5], s5, v18, v[20:21]
	v_mov_b32_e32 v1, v20
	;; [unrolled: 2-line block ×3, first 2 shown]
	v_mad_u64_u32 v[64:65], s[4:5], s9, v17, v[18:19]
	s_lshl_b64 s[4:5], s[6:7], 3
	s_add_u32 s4, s10, s4
	s_addc_u32 s5, s11, s5
	v_mov_b32_e32 v21, v64
	v_lshl_add_u64 v[0:1], v[0:1], 3, s[4:5]
	v_lshl_add_u64 v[20:21], v[20:21], 3, v[0:1]
	global_store_dwordx2 v[20:21], v[62:63], off
	v_mad_u64_u32 v[20:21], s[4:5], s8, v81, 0
	v_mov_b32_e32 v18, v21
	v_mad_u64_u32 v[62:63], s[4:5], s9, v81, v[18:19]
	v_mov_b32_e32 v21, v62
	v_lshl_add_u64 v[20:21], v[20:21], 3, v[0:1]
	global_store_dwordx2 v[20:21], v[78:79], off
	v_mad_u64_u32 v[20:21], s[4:5], s8, v82, 0
	v_mov_b32_e32 v18, v21
	v_mad_u64_u32 v[62:63], s[4:5], s9, v82, v[18:19]
	v_mov_b32_e32 v21, v62
	;; [unrolled: 6-line block ×3, first 2 shown]
	v_lshl_add_u64 v[20:21], v[20:21], 3, v[0:1]
	v_add_u32_e32 v62, 48, v17
	global_store_dwordx2 v[20:21], v[74:75], off
	v_mad_u64_u32 v[20:21], s[4:5], s8, v62, 0
	v_mov_b32_e32 v18, v21
	v_mad_u64_u32 v[62:63], s[4:5], s9, v62, v[18:19]
	v_mov_b32_e32 v21, v62
	v_lshl_add_u64 v[20:21], v[20:21], 3, v[0:1]
	global_store_dwordx2 v[20:21], v[72:73], off
	v_mad_u64_u32 v[20:21], s[4:5], s8, v84, 0
	v_mov_b32_e32 v18, v21
	v_mad_u64_u32 v[62:63], s[4:5], s9, v84, v[18:19]
	v_mov_b32_e32 v21, v62
	v_lshl_add_u64 v[20:21], v[20:21], 3, v[0:1]
	v_add_u32_e32 v17, 0x48, v17
	global_store_dwordx2 v[20:21], v[70:71], off
	v_mad_u64_u32 v[20:21], s[4:5], s8, v17, 0
	v_mov_b32_e32 v18, v21
	v_mad_u64_u32 v[62:63], s[4:5], s9, v17, v[18:19]
	v_mov_b32_e32 v21, v62
	s_andn2_b64 s[2:3], s[2:3], exec
	s_and_b64 s[0:1], s[0:1], exec
	v_lshl_add_u64 v[20:21], v[20:21], 3, v[0:1]
	s_or_b64 s[2:3], s[2:3], s[0:1]
	global_store_dwordx2 v[20:21], v[66:67], off
.LBB0_19:
	s_or_b64 exec, exec, s[12:13]
.LBB0_20:
	s_and_saveexec_b64 s[0:1], s[2:3]
	s_cbranch_execnz .LBB0_22
; %bb.21:
	s_endpgm
.LBB0_22:
	s_waitcnt vmcnt(14)
	v_mul_f32_e32 v17, v28, v3
	v_mov_b32_e32 v64, v28
	v_fma_f32 v28, v29, v2, -v17
	s_waitcnt vmcnt(1)
	v_mul_f32_e32 v17, v32, v13
	v_fma_f32 v32, v33, v12, -v17
	v_mul_f32_e32 v17, v41, v43
	v_fma_f32 v72, v40, v42, -v17
	;; [unrolled: 2-line block ×3, first 2 shown]
	v_mul_f32_e32 v17, v35, v37
	v_mul_f32_e32 v77, v34, v37
	v_fma_f32 v76, v34, v36, -v17
	v_fmac_f32_e32 v77, v35, v36
	v_mov_b32_e32 v18, v53
	v_pk_mul_f32 v[36:37], v[50:51], v[52:53] op_sel:[1,0] op_sel_hi:[0,1]
	v_mul_f32_e32 v69, v25, v5
	v_pk_mul_f32 v[34:35], v[50:51], v[18:19] op_sel:[1,0] op_sel_hi:[0,1]
	v_mov_b32_e32 v18, v37
	v_fmac_f32_e32 v69, v24, v4
	v_pk_fma_f32 v[34:35], v[50:51], v[52:53], v[34:35] neg_lo:[0,0,1] neg_hi:[0,0,1]
	v_pk_fma_f32 v[36:37], v[50:51], v[52:53], v[18:19] op_sel:[1,0,0] op_sel_hi:[0,1,1]
	v_mul_f32_e32 v17, v47, v49
	v_mul_f32_e32 v53, v46, v49
	v_mov_b32_e32 v49, v4
	v_mov_b32_e32 v50, v23
	;; [unrolled: 1-line block ×3, first 2 shown]
	s_waitcnt vmcnt(0)
	v_mov_b32_e32 v4, v7
	v_pk_mul_f32 v[4:5], v[50:51], v[4:5]
	v_mov_b32_e32 v62, v29
	v_mov_b32_e32 v63, v22
	v_mov_b32_e32 v65, v23
	v_fma_f32 v52, v46, v48, -v17
	v_fmac_f32_e32 v53, v47, v48
	v_mov_b32_e32 v46, v22
	v_mov_b32_e32 v47, v25
	;; [unrolled: 1-line block ×3, first 2 shown]
	v_pk_fma_f32 v[22:23], v[22:23], v[6:7], v[4:5] op_sel_hi:[0,1,1]
	v_mov_b32_e32 v25, v6
	v_mov_b32_e32 v6, v3
	;; [unrolled: 1-line block ×3, first 2 shown]
	v_pk_mul_f32 v[2:3], v[62:63], v[6:7]
	v_mov_b32_e32 v20, v33
	v_pk_fma_f32 v[6:7], v[64:65], v[24:25], v[2:3]
	v_pk_fma_f32 v[2:3], v[64:65], v[24:25], v[2:3] neg_lo:[0,0,1] neg_hi:[0,0,1]
	v_mul_f32_e32 v25, v30, v10
	v_mov_b32_e32 v21, v16
	v_mov_b32_e32 v67, v10
	v_pk_fma_f32 v[4:5], v[46:47], v[48:49], v[4:5] neg_lo:[0,0,1] neg_hi:[0,0,1]
	v_fmac_f32_e32 v25, v31, v11
	v_mov_b32_e32 v47, v31
	v_mov_b32_e32 v10, v8
	;; [unrolled: 1-line block ×7, first 2 shown]
	v_pk_mul_f32 v[8:9], v[20:21], v[8:9]
	v_mov_b32_e32 v2, v27
	v_mov_b32_e32 v46, v27
	v_pk_mul_f32 v[10:11], v[16:17], v[10:11]
	v_pk_fma_f32 v[12:13], v[26:27], v[30:31], v[8:9]
	v_pk_fma_f32 v[8:9], v[26:27], v[30:31], v[8:9] neg_lo:[0,0,1] neg_hi:[0,0,1]
	v_mov_b32_e32 v7, v3
	v_pk_fma_f32 v[16:17], v[2:3], v[66:67], v[10:11]
	v_pk_fma_f32 v[10:11], v[46:47], v[66:67], v[10:11] neg_lo:[0,0,1] neg_hi:[0,0,1]
	v_mov_b32_e32 v13, v9
	v_mov_b32_e32 v23, v5
	;; [unrolled: 1-line block ×7, first 2 shown]
	v_pk_add_f32 v[6:7], v[6:7], v[12:13]
	v_mov_b32_e32 v8, v9
	v_mov_b32_e32 v9, v16
	;; [unrolled: 1-line block ×4, first 2 shown]
	v_add_f32_e32 v71, v28, v32
	v_pk_add_f32 v[20:21], v[28:29], v[32:33] neg_lo:[0,1] neg_hi:[0,1]
	v_add_f32_e32 v2, v69, v25
	v_pk_add_f32 v[4:5], v[68:69], v[24:25] neg_lo:[0,1] neg_hi:[0,1]
	v_pk_add_f32 v[10:11], v[22:23], v[16:17]
	v_pk_add_f32 v[8:9], v[8:9], v[12:13] neg_lo:[0,1] neg_hi:[0,1]
	v_mov_b32_e32 v3, v11
	v_mov_b32_e32 v70, v6
	;; [unrolled: 1-line block ×10, first 2 shown]
	s_mov_b32 s2, 0x3d64c772
	s_mov_b32 s6, 0xbeae86e6
	v_pk_add_f32 v[12:13], v[2:3], v[70:71]
	v_pk_add_f32 v[16:17], v[16:17], v[22:23] neg_lo:[0,1] neg_hi:[0,1]
	v_pk_add_f32 v[22:23], v[6:7], v[10:11] neg_lo:[0,1] neg_hi:[0,1]
	v_pk_add_f32 v[24:25], v[8:9], v[4:5]
	v_pk_add_f32 v[26:27], v[26:27], v[28:29] neg_lo:[0,1] neg_hi:[0,1]
	v_mov_b32_e32 v28, v20
	v_mov_b32_e32 v9, v5
	v_mov_b32_e32 v11, v7
	s_mov_b32 s3, 0x3f4a47b2
	s_mov_b32 s7, 0x3f08b237
	v_pk_add_f32 v[8:9], v[28:29], v[8:9] neg_lo:[0,1] neg_hi:[0,1]
	v_pk_add_f32 v[6:7], v[10:11], v[12:13]
	s_mov_b32 s4, s3
	s_mov_b32 s5, s2
	;; [unrolled: 1-line block ×4, first 2 shown]
	v_pk_add_f32 v[10:11], v[24:25], v[20:21]
	v_pk_add_f32 v[12:13], v[14:15], v[6:7]
	s_mov_b32 s0, 0xbf955555
	v_pk_mul_f32 v[14:15], v[16:17], s[2:3]
	v_pk_mul_f32 v[16:17], v[22:23], s[4:5]
	;; [unrolled: 1-line block ×4, first 2 shown]
	v_pk_fma_f32 v[6:7], v[6:7], s[0:1], v[12:13] op_sel_hi:[1,0,1]
	v_pk_fma_f32 v[22:23], v[22:23], s[4:5], v[14:15]
	v_pk_add_f32 v[2:3], v[2:3], v[70:71] neg_lo:[0,1] neg_hi:[0,1]
	v_pk_add_f32 v[4:5], v[4:5], v[20:21] neg_lo:[0,1] neg_hi:[0,1]
	s_mov_b32 s0, 0x3f3bfb3b
	s_mov_b32 s4, 0xbf5ff5aa
	v_mov_b32_e32 v20, v16
	v_mov_b32_e32 v21, v15
	;; [unrolled: 1-line block ×4, first 2 shown]
	s_mov_b32 s2, 0xbee1c552
	v_pk_fma_f32 v[20:21], v[2:3], s[0:1], v[20:21] op_sel_hi:[1,0,1] neg_lo:[1,0,1] neg_hi:[1,0,1]
	v_pk_fma_f32 v[32:33], v[4:5], s[4:5], v[32:33] op_sel_hi:[1,0,1] neg_lo:[1,0,1] neg_hi:[1,0,1]
	v_pk_add_f32 v[20:21], v[20:21], v[6:7]
	v_pk_fma_f32 v[32:33], v[10:11], s[2:3], v[32:33] op_sel_hi:[1,0,1]
	v_pk_fma_f32 v[8:9], v[8:9], s[6:7], v[26:27]
	v_pk_add_f32 v[46:47], v[32:33], v[20:21]
	v_pk_add_f32 v[20:21], v[20:21], v[32:33] neg_lo:[0,1] neg_hi:[0,1]
	v_mul_f32_e32 v15, v46, v77
	v_fma_f32 v49, v21, v76, -v15
	v_mov_b32_e32 v15, v17
	v_mov_b32_e32 v27, v25
	v_pk_fma_f32 v[2:3], v[2:3], s[0:1], v[14:15] op_sel_hi:[1,0,1] neg_lo:[0,0,1] neg_hi:[0,0,1]
	v_pk_fma_f32 v[4:5], v[4:5], s[4:5], v[26:27] op_sel_hi:[1,0,1] neg_lo:[0,0,1] neg_hi:[0,0,1]
	v_pk_add_f32 v[2:3], v[2:3], v[6:7]
	v_pk_fma_f32 v[4:5], v[10:11], s[2:3], v[4:5] op_sel_hi:[1,0,1]
	v_pk_add_f32 v[22:23], v[22:23], v[6:7]
	v_pk_add_f32 v[6:7], v[2:3], v[4:5] neg_lo:[0,1] neg_hi:[0,1]
	v_pk_add_f32 v[2:3], v[2:3], v[4:5]
	v_pk_fma_f32 v[8:9], v[10:11], s[2:3], v[8:9] op_sel_hi:[1,0,1]
	v_mov_b32_e32 v10, v3
	v_mov_b32_e32 v11, v6
	v_mul_f32_e32 v73, v40, v43
	v_pk_mul_f32 v[10:11], v[10:11], v[36:37] op_sel_hi:[1,0]
	v_fmac_f32_e32 v73, v41, v42
	v_mul_f32_e32 v75, v38, v45
	v_mov_b32_e32 v18, v61
	v_pk_mul_f32 v[40:41], v[58:59], v[60:61] op_sel:[1,0] op_sel_hi:[0,1]
	v_mov_b32_e32 v4, v6
	v_pk_fma_f32 v[14:15], v[6:7], v[34:35], v[10:11]
	v_mul_f32_e32 v6, v7, v53
	v_fmac_f32_e32 v75, v39, v44
	v_pk_mul_f32 v[38:39], v[58:59], v[18:19] op_sel:[1,0] op_sel_hi:[0,1]
	v_mov_b32_e32 v18, v41
	v_fmac_f32_e32 v6, v2, v52
	v_mul_f32_e32 v2, v2, v53
	v_pk_fma_f32 v[40:41], v[58:59], v[60:61], v[18:19] op_sel:[1,0,0] op_sel_hi:[0,1,1]
	v_mov_b32_e32 v5, v3
	v_fma_f32 v7, v7, v52, -v2
	v_mov_b32_e32 v2, v47
	v_mov_b32_e32 v3, v20
	v_pk_fma_f32 v[38:39], v[58:59], v[60:61], v[38:39] neg_lo:[0,0,1] neg_hi:[0,0,1]
	v_mov_b32_e32 v32, v20
	v_mov_b32_e32 v33, v47
	v_pk_mul_f32 v[2:3], v[2:3], v[40:41] op_sel_hi:[1,0]
	v_mov_b32_e32 v18, v57
	v_pk_mul_f32 v[44:45], v[54:55], v[56:57] op_sel:[1,0] op_sel_hi:[0,1]
	v_mul_f32_e32 v48, v21, v77
	v_pk_fma_f32 v[4:5], v[4:5], v[34:35], v[10:11] op_sel_hi:[1,0,1] neg_lo:[0,0,1] neg_hi:[0,0,1]
	v_pk_fma_f32 v[10:11], v[20:21], v[38:39], v[2:3]
	v_pk_fma_f32 v[2:3], v[32:33], v[38:39], v[2:3] op_sel_hi:[1,0,1] neg_lo:[0,0,1] neg_hi:[0,0,1]
	v_mad_u64_u32 v[20:21], s[0:1], s8, v19, 0
	v_pk_mul_f32 v[42:43], v[54:55], v[18:19] op_sel:[1,0] op_sel_hi:[0,1]
	v_mov_b32_e32 v18, v45
	v_mov_b32_e32 v2, v21
	v_pk_fma_f32 v[44:45], v[54:55], v[56:57], v[18:19] op_sel:[1,0,0] op_sel_hi:[0,1,1]
	v_mul_f32_e32 v30, v13, v73
	v_mad_u64_u32 v[18:19], s[0:1], s9, v19, v[2:3]
	v_fmac_f32_e32 v30, v12, v72
	v_mul_f32_e32 v12, v12, v73
	v_mov_b32_e32 v21, v18
	v_fma_f32 v31, v13, v72, -v12
	v_lshl_add_u64 v[18:19], v[20:21], 3, v[0:1]
	v_add_u32_e32 v4, 19, v80
	global_store_dwordx2 v[18:19], v[30:31], off
	v_mad_u64_u32 v[18:19], s[0:1], s8, v4, 0
	v_mov_b32_e32 v2, v19
	v_pk_add_f32 v[28:29], v[8:9], v[22:23]
	v_pk_add_f32 v[8:9], v[22:23], v[8:9] neg_lo:[0,1] neg_hi:[0,1]
	v_mad_u64_u32 v[20:21], s[0:1], s9, v4, v[2:3]
	v_mul_f32_e32 v12, v9, v75
	v_mul_f32_e32 v13, v28, v75
	v_mov_b32_e32 v19, v20
	v_fmac_f32_e32 v12, v28, v74
	v_fma_f32 v13, v9, v74, -v13
	v_lshl_add_u64 v[18:19], v[18:19], 3, v[0:1]
	v_add_u32_e32 v4, 31, v80
	global_store_dwordx2 v[18:19], v[12:13], off
	v_mad_u64_u32 v[12:13], s[0:1], s8, v4, 0
	v_mov_b32_e32 v2, v13
	v_mad_u64_u32 v[18:19], s[0:1], s9, v4, v[2:3]
	v_mov_b32_e32 v13, v18
	v_fmac_f32_e32 v48, v46, v76
	v_mov_b32_e32 v16, v29
	v_mov_b32_e32 v17, v8
	v_lshl_add_u64 v[12:13], v[12:13], 3, v[0:1]
	v_add_u32_e32 v4, 43, v80
	v_pk_fma_f32 v[42:43], v[54:55], v[56:57], v[42:43] neg_lo:[0,0,1] neg_hi:[0,0,1]
	v_pk_mul_f32 v[16:17], v[16:17], v[44:45] op_sel_hi:[1,0]
	global_store_dwordx2 v[12:13], v[48:49], off
	v_mad_u64_u32 v[12:13], s[0:1], s8, v4, 0
	v_mov_b32_e32 v22, v8
	v_pk_fma_f32 v[8:9], v[8:9], v[42:43], v[16:17]
	v_mov_b32_e32 v2, v13
	v_mad_u64_u32 v[18:19], s[0:1], s9, v4, v[2:3]
	v_add_u32_e32 v9, 55, v80
	v_mov_b32_e32 v13, v18
	v_mov_b32_e32 v15, v5
	v_mad_u64_u32 v[4:5], s[0:1], s8, v9, 0
	v_lshl_add_u64 v[12:13], v[12:13], 3, v[0:1]
	v_mov_b32_e32 v2, v5
	global_store_dwordx2 v[12:13], v[14:15], off
	v_mad_u64_u32 v[12:13], s[0:1], s9, v9, v[2:3]
	v_mov_b32_e32 v5, v12
	v_lshl_add_u64 v[4:5], v[4:5], 3, v[0:1]
	global_store_dwordx2 v[4:5], v[6:7], off
	v_add_u32_e32 v6, 0x43, v80
	v_mad_u64_u32 v[4:5], s[0:1], s8, v6, 0
	v_mov_b32_e32 v2, v5
	v_mad_u64_u32 v[6:7], s[0:1], s9, v6, v[2:3]
	v_mov_b32_e32 v5, v6
	v_lshl_add_u64 v[4:5], v[4:5], 3, v[0:1]
	v_mov_b32_e32 v11, v3
	global_store_dwordx2 v[4:5], v[10:11], off
	v_add_u32_e32 v5, 0x4f, v80
	v_mad_u64_u32 v[2:3], s[0:1], s8, v5, 0
	v_mov_b32_e32 v4, v3
	v_mov_b32_e32 v23, v29
	v_mad_u64_u32 v[4:5], s[0:1], s9, v5, v[4:5]
	v_pk_fma_f32 v[16:17], v[22:23], v[42:43], v[16:17] op_sel_hi:[1,0,1] neg_lo:[0,0,1] neg_hi:[0,0,1]
	v_mov_b32_e32 v3, v4
	v_lshl_add_u64 v[0:1], v[2:3], 3, v[0:1]
	v_mov_b32_e32 v9, v17
	global_store_dwordx2 v[0:1], v[8:9], off
	s_endpgm
	.section	.rodata,"a",@progbits
	.p2align	6, 0x0
	.amdhsa_kernel fft_rtc_back_len84_factors_2_6_7_wgs_189_tpt_7_dim2_sp_ip_CI_sbcc_twdbase8_2step_dirReg
		.amdhsa_group_segment_fixed_size 0
		.amdhsa_private_segment_fixed_size 0
		.amdhsa_kernarg_size 88
		.amdhsa_user_sgpr_count 2
		.amdhsa_user_sgpr_dispatch_ptr 0
		.amdhsa_user_sgpr_queue_ptr 0
		.amdhsa_user_sgpr_kernarg_segment_ptr 1
		.amdhsa_user_sgpr_dispatch_id 0
		.amdhsa_user_sgpr_kernarg_preload_length 0
		.amdhsa_user_sgpr_kernarg_preload_offset 0
		.amdhsa_user_sgpr_private_segment_size 0
		.amdhsa_uses_dynamic_stack 0
		.amdhsa_enable_private_segment 0
		.amdhsa_system_sgpr_workgroup_id_x 1
		.amdhsa_system_sgpr_workgroup_id_y 0
		.amdhsa_system_sgpr_workgroup_id_z 0
		.amdhsa_system_sgpr_workgroup_info 0
		.amdhsa_system_vgpr_workitem_id 0
		.amdhsa_next_free_vgpr 112
		.amdhsa_next_free_sgpr 26
		.amdhsa_accum_offset 112
		.amdhsa_reserve_vcc 1
		.amdhsa_float_round_mode_32 0
		.amdhsa_float_round_mode_16_64 0
		.amdhsa_float_denorm_mode_32 3
		.amdhsa_float_denorm_mode_16_64 3
		.amdhsa_dx10_clamp 1
		.amdhsa_ieee_mode 1
		.amdhsa_fp16_overflow 0
		.amdhsa_tg_split 0
		.amdhsa_exception_fp_ieee_invalid_op 0
		.amdhsa_exception_fp_denorm_src 0
		.amdhsa_exception_fp_ieee_div_zero 0
		.amdhsa_exception_fp_ieee_overflow 0
		.amdhsa_exception_fp_ieee_underflow 0
		.amdhsa_exception_fp_ieee_inexact 0
		.amdhsa_exception_int_div_zero 0
	.end_amdhsa_kernel
	.text
.Lfunc_end0:
	.size	fft_rtc_back_len84_factors_2_6_7_wgs_189_tpt_7_dim2_sp_ip_CI_sbcc_twdbase8_2step_dirReg, .Lfunc_end0-fft_rtc_back_len84_factors_2_6_7_wgs_189_tpt_7_dim2_sp_ip_CI_sbcc_twdbase8_2step_dirReg
                                        ; -- End function
	.section	.AMDGPU.csdata,"",@progbits
; Kernel info:
; codeLenInByte = 7928
; NumSgprs: 32
; NumVgprs: 112
; NumAgprs: 0
; TotalNumVgprs: 112
; ScratchSize: 0
; MemoryBound: 0
; FloatMode: 240
; IeeeMode: 1
; LDSByteSize: 0 bytes/workgroup (compile time only)
; SGPRBlocks: 3
; VGPRBlocks: 13
; NumSGPRsForWavesPerEU: 32
; NumVGPRsForWavesPerEU: 112
; AccumOffset: 112
; Occupancy: 4
; WaveLimiterHint : 1
; COMPUTE_PGM_RSRC2:SCRATCH_EN: 0
; COMPUTE_PGM_RSRC2:USER_SGPR: 2
; COMPUTE_PGM_RSRC2:TRAP_HANDLER: 0
; COMPUTE_PGM_RSRC2:TGID_X_EN: 1
; COMPUTE_PGM_RSRC2:TGID_Y_EN: 0
; COMPUTE_PGM_RSRC2:TGID_Z_EN: 0
; COMPUTE_PGM_RSRC2:TIDIG_COMP_CNT: 0
; COMPUTE_PGM_RSRC3_GFX90A:ACCUM_OFFSET: 27
; COMPUTE_PGM_RSRC3_GFX90A:TG_SPLIT: 0
	.text
	.p2alignl 6, 3212836864
	.fill 256, 4, 3212836864
	.type	__hip_cuid_67e3ec47ec34da60,@object ; @__hip_cuid_67e3ec47ec34da60
	.section	.bss,"aw",@nobits
	.globl	__hip_cuid_67e3ec47ec34da60
__hip_cuid_67e3ec47ec34da60:
	.byte	0                               ; 0x0
	.size	__hip_cuid_67e3ec47ec34da60, 1

	.ident	"AMD clang version 19.0.0git (https://github.com/RadeonOpenCompute/llvm-project roc-6.4.0 25133 c7fe45cf4b819c5991fe208aaa96edf142730f1d)"
	.section	".note.GNU-stack","",@progbits
	.addrsig
	.addrsig_sym __hip_cuid_67e3ec47ec34da60
	.amdgpu_metadata
---
amdhsa.kernels:
  - .agpr_count:     0
    .args:
      - .actual_access:  read_only
        .address_space:  global
        .offset:         0
        .size:           8
        .value_kind:     global_buffer
      - .address_space:  global
        .offset:         8
        .size:           8
        .value_kind:     global_buffer
      - .actual_access:  read_only
        .address_space:  global
        .offset:         16
        .size:           8
        .value_kind:     global_buffer
      - .actual_access:  read_only
        .address_space:  global
        .offset:         24
        .size:           8
        .value_kind:     global_buffer
      - .offset:         32
        .size:           8
        .value_kind:     by_value
      - .actual_access:  read_only
        .address_space:  global
        .offset:         40
        .size:           8
        .value_kind:     global_buffer
      - .actual_access:  read_only
        .address_space:  global
        .offset:         48
        .size:           8
        .value_kind:     global_buffer
      - .offset:         56
        .size:           4
        .value_kind:     by_value
      - .actual_access:  read_only
        .address_space:  global
        .offset:         64
        .size:           8
        .value_kind:     global_buffer
      - .actual_access:  read_only
        .address_space:  global
        .offset:         72
        .size:           8
        .value_kind:     global_buffer
      - .address_space:  global
        .offset:         80
        .size:           8
        .value_kind:     global_buffer
    .group_segment_fixed_size: 0
    .kernarg_segment_align: 8
    .kernarg_segment_size: 88
    .language:       OpenCL C
    .language_version:
      - 2
      - 0
    .max_flat_workgroup_size: 189
    .name:           fft_rtc_back_len84_factors_2_6_7_wgs_189_tpt_7_dim2_sp_ip_CI_sbcc_twdbase8_2step_dirReg
    .private_segment_fixed_size: 0
    .sgpr_count:     32
    .sgpr_spill_count: 0
    .symbol:         fft_rtc_back_len84_factors_2_6_7_wgs_189_tpt_7_dim2_sp_ip_CI_sbcc_twdbase8_2step_dirReg.kd
    .uniform_work_group_size: 1
    .uses_dynamic_stack: false
    .vgpr_count:     112
    .vgpr_spill_count: 0
    .wavefront_size: 64
amdhsa.target:   amdgcn-amd-amdhsa--gfx950
amdhsa.version:
  - 1
  - 2
...

	.end_amdgpu_metadata
